;; amdgpu-corpus repo=ROCm/rocFFT kind=compiled arch=gfx906 opt=O3
	.text
	.amdgcn_target "amdgcn-amd-amdhsa--gfx906"
	.amdhsa_code_object_version 6
	.protected	bluestein_single_back_len22_dim1_dp_op_CI_CI ; -- Begin function bluestein_single_back_len22_dim1_dp_op_CI_CI
	.globl	bluestein_single_back_len22_dim1_dp_op_CI_CI
	.p2align	8
	.type	bluestein_single_back_len22_dim1_dp_op_CI_CI,@function
bluestein_single_back_len22_dim1_dp_op_CI_CI: ; @bluestein_single_back_len22_dim1_dp_op_CI_CI
; %bb.0:
	s_load_dwordx4 s[12:15], s[4:5], 0x28
	v_lshrrev_b32_e32 v44, 1, v0
	v_lshl_or_b32 v116, s6, 5, v44
	v_mov_b32_e32 v117, 0
	s_waitcnt lgkmcnt(0)
	v_cmp_gt_u64_e32 vcc, s[12:13], v[116:117]
	s_and_saveexec_b64 s[0:1], vcc
	s_cbranch_execz .LBB0_10
; %bb.1:
	s_load_dwordx4 s[0:3], s[4:5], 0x18
	s_load_dwordx4 s[8:11], s[4:5], 0x0
	v_and_b32_e32 v119, 1, v0
	v_mov_b32_e32 v6, s15
	v_lshlrev_b32_e32 v122, 4, v119
	s_waitcnt lgkmcnt(0)
	s_load_dwordx4 s[16:19], s[0:1], 0x0
	v_mul_u32_u24_e32 v112, 22, v44
	v_or_b32_e32 v44, v112, v119
	v_lshlrev_b32_e32 v121, 4, v44
	v_lshl_or_b32 v120, v112, 4, v122
	s_waitcnt lgkmcnt(0)
	v_mad_u64_u32 v[0:1], s[0:1], s18, v116, 0
	v_mul_lo_u32 v2, s16, v119
	v_mul_lo_u32 v3, s17, v119
	s_mov_b32 s22, 0xf8bb580b
	s_mov_b32 s23, 0xbfe14ced
	v_mad_u64_u32 v[4:5], s[0:1], s19, v116, v[1:2]
	v_lshlrev_b64 v[2:3], 4, v[2:3]
	s_lshl_b64 s[0:1], s[16:17], 5
	v_mov_b32_e32 v1, v4
	v_lshlrev_b64 v[0:1], 4, v[0:1]
	v_mov_b32_e32 v22, s1
	v_add_co_u32_e32 v0, vcc, s14, v0
	v_addc_co_u32_e32 v1, vcc, v6, v1, vcc
	v_add_co_u32_e32 v0, vcc, v0, v2
	v_addc_co_u32_e32 v1, vcc, v1, v3, vcc
	global_load_dwordx4 v[45:48], v[0:1], off
	v_add_co_u32_e32 v0, vcc, s0, v0
	v_addc_co_u32_e32 v1, vcc, v1, v22, vcc
	global_load_dwordx4 v[40:43], v122, s[8:9]
	global_load_dwordx4 v[32:35], v122, s[8:9] offset:32
	v_add_co_u32_e32 v2, vcc, s0, v0
	v_addc_co_u32_e32 v3, vcc, v1, v22, vcc
	global_load_dwordx4 v[49:52], v[0:1], off
	global_load_dwordx4 v[53:56], v[2:3], off
	global_load_dwordx4 v[36:39], v122, s[8:9] offset:64
	global_load_dwordx4 v[24:27], v122, s[8:9] offset:96
	v_add_co_u32_e32 v0, vcc, s0, v2
	v_addc_co_u32_e32 v1, vcc, v3, v22, vcc
	v_add_co_u32_e32 v2, vcc, s0, v0
	v_addc_co_u32_e32 v3, vcc, v1, v22, vcc
	global_load_dwordx4 v[57:60], v[0:1], off
	global_load_dwordx4 v[61:64], v[2:3], off
	v_add_co_u32_e32 v0, vcc, s0, v2
	v_addc_co_u32_e32 v1, vcc, v3, v22, vcc
	global_load_dwordx4 v[65:68], v[0:1], off
	global_load_dwordx4 v[28:31], v122, s[8:9] offset:128
	global_load_dwordx4 v[16:19], v122, s[8:9] offset:160
	v_add_co_u32_e32 v0, vcc, s0, v0
	v_addc_co_u32_e32 v1, vcc, v1, v22, vcc
	global_load_dwordx4 v[69:72], v[0:1], off
	global_load_dwordx4 v[12:15], v122, s[8:9] offset:192
	v_add_co_u32_e32 v0, vcc, s0, v0
	v_addc_co_u32_e32 v1, vcc, v1, v22, vcc
	global_load_dwordx4 v[73:76], v[0:1], off
	global_load_dwordx4 v[4:7], v122, s[8:9] offset:224
	v_add_co_u32_e32 v0, vcc, s0, v0
	v_addc_co_u32_e32 v1, vcc, v1, v22, vcc
	v_add_co_u32_e32 v20, vcc, s0, v0
	global_load_dwordx4 v[77:80], v[0:1], off
	v_addc_co_u32_e32 v21, vcc, v1, v22, vcc
	global_load_dwordx4 v[81:84], v[20:21], off
	global_load_dwordx4 v[8:11], v122, s[8:9] offset:256
	global_load_dwordx4 v[0:3], v122, s[8:9] offset:288
	v_add_co_u32_e32 v89, vcc, s0, v20
	v_addc_co_u32_e32 v90, vcc, v21, v22, vcc
	global_load_dwordx4 v[20:23], v122, s[8:9] offset:320
	global_load_dwordx4 v[85:88], v[89:90], off
	s_load_dwordx4 s[0:3], s[2:3], 0x0
	s_mov_b32 s18, 0x8764f0ba
	s_mov_b32 s16, 0x43842ef
	;; [unrolled: 1-line block ×24, first 2 shown]
	s_load_dwordx2 s[4:5], s[4:5], 0x38
	s_waitcnt vmcnt(20)
	v_mul_f64 v[89:90], v[47:48], v[42:43]
	v_mul_f64 v[91:92], v[45:46], v[42:43]
	s_waitcnt vmcnt(18)
	v_mul_f64 v[93:94], v[51:52], v[34:35]
	v_mul_f64 v[95:96], v[49:50], v[34:35]
	;; [unrolled: 3-line block ×3, first 2 shown]
	v_fma_f64 v[44:45], v[45:46], v[40:41], v[89:90]
	v_fma_f64 v[46:47], v[47:48], v[40:41], -v[91:92]
	v_fma_f64 v[48:49], v[49:50], v[32:33], v[93:94]
	v_fma_f64 v[50:51], v[51:52], v[32:33], -v[95:96]
	;; [unrolled: 2-line block ×3, first 2 shown]
	s_waitcnt vmcnt(14)
	v_mul_f64 v[101:102], v[59:60], v[26:27]
	v_mul_f64 v[103:104], v[57:58], v[26:27]
	ds_write_b128 v121, v[44:47]
	ds_write_b128 v120, v[48:51] offset:32
	ds_write_b128 v120, v[52:55] offset:64
	s_waitcnt vmcnt(11)
	v_mul_f64 v[105:106], v[63:64], v[30:31]
	v_mul_f64 v[107:108], v[61:62], v[30:31]
	s_waitcnt vmcnt(10)
	v_mul_f64 v[109:110], v[67:68], v[18:19]
	v_mul_f64 v[113:114], v[65:66], v[18:19]
	s_waitcnt vmcnt(8)
	v_mul_f64 v[117:118], v[71:72], v[14:15]
	v_mul_f64 v[123:124], v[69:70], v[14:15]
	v_fma_f64 v[56:57], v[57:58], v[24:25], v[101:102]
	v_fma_f64 v[58:59], v[59:60], v[24:25], -v[103:104]
	s_waitcnt vmcnt(6)
	v_mul_f64 v[44:45], v[75:76], v[6:7]
	v_mul_f64 v[46:47], v[73:74], v[6:7]
	v_fma_f64 v[60:61], v[61:62], v[28:29], v[105:106]
	v_fma_f64 v[62:63], v[63:64], v[28:29], -v[107:108]
	v_fma_f64 v[64:65], v[65:66], v[16:17], v[109:110]
	v_fma_f64 v[66:67], v[67:68], v[16:17], -v[113:114]
	v_fma_f64 v[68:69], v[69:70], v[12:13], v[117:118]
	v_fma_f64 v[70:71], v[71:72], v[12:13], -v[123:124]
	v_fma_f64 v[44:45], v[73:74], v[4:5], v[44:45]
	s_waitcnt vmcnt(3)
	v_mul_f64 v[48:49], v[79:80], v[10:11]
	v_mul_f64 v[50:51], v[77:78], v[10:11]
	s_waitcnt vmcnt(2)
	v_mul_f64 v[52:53], v[83:84], v[2:3]
	v_mul_f64 v[54:55], v[81:82], v[2:3]
	v_fma_f64 v[46:47], v[75:76], v[4:5], -v[46:47]
	s_waitcnt vmcnt(0)
	v_mul_f64 v[89:90], v[87:88], v[22:23]
	v_mul_f64 v[91:92], v[85:86], v[22:23]
	v_fma_f64 v[48:49], v[77:78], v[8:9], v[48:49]
	v_fma_f64 v[50:51], v[79:80], v[8:9], -v[50:51]
	v_fma_f64 v[52:53], v[81:82], v[0:1], v[52:53]
	v_fma_f64 v[54:55], v[83:84], v[0:1], -v[54:55]
	v_fma_f64 v[72:73], v[85:86], v[20:21], v[89:90]
	v_fma_f64 v[74:75], v[87:88], v[20:21], -v[91:92]
	ds_write_b128 v120, v[56:59] offset:96
	ds_write_b128 v120, v[60:63] offset:128
	;; [unrolled: 1-line block ×8, first 2 shown]
	s_waitcnt lgkmcnt(0)
	; wave barrier
	s_waitcnt lgkmcnt(0)
	ds_read_b128 v[48:51], v121
	ds_read_b128 v[44:47], v120 offset:32
	ds_read_b128 v[60:63], v120 offset:64
	;; [unrolled: 1-line block ×3, first 2 shown]
	s_waitcnt lgkmcnt(2)
	v_add_f64 v[52:53], v[48:49], v[44:45]
	v_add_f64 v[54:55], v[50:51], v[46:47]
	s_waitcnt lgkmcnt(1)
	v_add_f64 v[52:53], v[52:53], v[60:61]
	v_add_f64 v[54:55], v[54:55], v[62:63]
	;; [unrolled: 3-line block ×3, first 2 shown]
	ds_read_b128 v[72:75], v120 offset:128
	ds_read_b128 v[52:55], v120 offset:160
	;; [unrolled: 1-line block ×4, first 2 shown]
	s_waitcnt lgkmcnt(3)
	v_add_f64 v[56:57], v[56:57], v[72:73]
	v_add_f64 v[58:59], v[58:59], v[74:75]
	s_waitcnt lgkmcnt(0)
	v_add_f64 v[100:101], v[60:61], v[84:85]
	v_add_f64 v[68:69], v[56:57], v[52:53]
	;; [unrolled: 1-line block ×3, first 2 shown]
	ds_read_b128 v[56:59], v120 offset:192
	s_waitcnt lgkmcnt(0)
	v_add_f64 v[117:118], v[54:55], v[58:59]
	v_add_f64 v[80:81], v[68:69], v[56:57]
	;; [unrolled: 1-line block ×3, first 2 shown]
	ds_read_b128 v[68:71], v120 offset:320
	s_waitcnt lgkmcnt(0)
	v_add_f64 v[92:93], v[46:47], -v[70:71]
	v_add_f64 v[88:89], v[80:81], v[76:77]
	v_add_f64 v[90:91], v[82:83], v[78:79]
	ds_read_b128 v[80:83], v120 offset:256
	v_add_f64 v[94:95], v[44:45], -v[68:69]
	v_add_f64 v[96:97], v[44:45], v[68:69]
	v_add_f64 v[98:99], v[46:47], v[70:71]
	s_waitcnt lgkmcnt(0)
	v_mul_f64 v[44:45], v[92:93], s[22:23]
	v_add_f64 v[88:89], v[88:89], v[80:81]
	v_add_f64 v[90:91], v[90:91], v[82:83]
	v_mul_f64 v[102:103], v[92:93], s[12:13]
	v_mul_f64 v[104:105], v[92:93], s[16:17]
	;; [unrolled: 1-line block ×3, first 2 shown]
	; wave barrier
	v_fma_f64 v[108:109], v[96:97], s[18:19], -v[44:45]
	v_add_f64 v[46:47], v[88:89], v[84:85]
	v_add_f64 v[88:89], v[90:91], v[86:87]
	;; [unrolled: 1-line block ×3, first 2 shown]
	v_fma_f64 v[110:111], v[96:97], s[18:19], v[44:45]
	v_add_f64 v[84:85], v[60:61], -v[84:85]
	v_add_f64 v[86:87], v[62:63], -v[86:87]
	v_add_f64 v[60:61], v[72:73], v[76:77]
	v_add_f64 v[62:63], v[74:75], v[78:79]
	;; [unrolled: 1-line block ×6, first 2 shown]
	v_add_f64 v[80:81], v[64:65], -v[80:81]
	v_add_f64 v[82:83], v[66:67], -v[82:83]
	;; [unrolled: 1-line block ×5, first 2 shown]
	v_mul_f64 v[54:55], v[92:93], s[28:29]
	v_mul_f64 v[74:75], v[94:95], s[22:23]
	;; [unrolled: 1-line block ×3, first 2 shown]
	v_fma_f64 v[113:114], v[96:97], s[6:7], -v[102:103]
	v_fma_f64 v[88:89], v[96:97], s[6:7], v[102:103]
	v_add_f64 v[78:79], v[52:53], -v[56:57]
	v_add_f64 v[102:103], v[52:53], v[56:57]
	v_fma_f64 v[52:53], v[96:97], s[14:15], -v[104:105]
	v_fma_f64 v[56:57], v[96:97], s[14:15], v[104:105]
	v_fma_f64 v[58:59], v[96:97], s[24:25], -v[106:107]
	v_fma_f64 v[72:73], v[96:97], s[24:25], v[106:107]
	v_fma_f64 v[104:105], v[96:97], s[26:27], -v[54:55]
	v_mul_f64 v[106:107], v[94:95], s[16:17]
	v_fma_f64 v[54:55], v[96:97], s[26:27], v[54:55]
	v_mul_f64 v[96:97], v[94:95], s[20:21]
	v_mul_f64 v[94:95], v[94:95], s[28:29]
	v_fma_f64 v[123:124], v[98:99], s[18:19], v[74:75]
	v_fma_f64 v[125:126], v[98:99], s[6:7], v[92:93]
	v_fma_f64 v[74:75], v[98:99], s[18:19], -v[74:75]
	v_fma_f64 v[92:93], v[98:99], s[6:7], -v[92:93]
	v_fma_f64 v[127:128], v[98:99], s[14:15], v[106:107]
	v_fma_f64 v[106:107], v[98:99], s[14:15], -v[106:107]
	v_fma_f64 v[129:130], v[98:99], s[24:25], v[96:97]
	v_fma_f64 v[96:97], v[98:99], s[24:25], -v[96:97]
	v_fma_f64 v[131:132], v[98:99], s[26:27], v[94:95]
	v_fma_f64 v[94:95], v[98:99], s[26:27], -v[94:95]
	v_add_f64 v[98:99], v[48:49], v[108:109]
	v_add_f64 v[108:109], v[50:51], v[123:124]
	;; [unrolled: 1-line block ×3, first 2 shown]
	v_mul_f64 v[125:126], v[86:87], s[12:13]
	v_mul_f64 v[133:134], v[84:85], s[12:13]
	v_add_f64 v[110:111], v[48:49], v[110:111]
	v_add_f64 v[74:75], v[50:51], v[74:75]
	;; [unrolled: 1-line block ×6, first 2 shown]
	v_fma_f64 v[135:136], v[100:101], s[6:7], -v[125:126]
	v_add_f64 v[127:128], v[50:51], v[127:128]
	v_add_f64 v[56:57], v[48:49], v[56:57]
	v_add_f64 v[106:107], v[50:51], v[106:107]
	v_add_f64 v[58:59], v[48:49], v[58:59]
	v_add_f64 v[129:130], v[50:51], v[129:130]
	v_add_f64 v[72:73], v[48:49], v[72:73]
	v_add_f64 v[96:97], v[50:51], v[96:97]
	v_add_f64 v[104:105], v[48:49], v[104:105]
	v_add_f64 v[131:132], v[50:51], v[131:132]
	v_add_f64 v[48:49], v[48:49], v[54:55]
	v_fma_f64 v[54:55], v[90:91], s[6:7], v[133:134]
	v_add_f64 v[50:51], v[50:51], v[94:95]
	v_add_f64 v[94:95], v[135:136], v[98:99]
	v_mul_f64 v[98:99], v[86:87], s[20:21]
	v_mul_f64 v[135:136], v[84:85], s[20:21]
	;; [unrolled: 1-line block ×4, first 2 shown]
	s_mov_b32 s13, 0x3fed1bb4
	v_add_f64 v[54:55], v[54:55], v[108:109]
	v_fma_f64 v[108:109], v[100:101], s[6:7], v[125:126]
	v_fma_f64 v[125:126], v[90:91], s[6:7], -v[133:134]
	v_fma_f64 v[133:134], v[100:101], s[24:25], -v[98:99]
	v_fma_f64 v[139:140], v[90:91], s[24:25], v[135:136]
	v_fma_f64 v[98:99], v[100:101], s[24:25], v[98:99]
	v_fma_f64 v[135:136], v[90:91], s[24:25], -v[135:136]
	v_fma_f64 v[141:142], v[100:101], s[26:27], -v[137:138]
	v_add_f64 v[108:109], v[108:109], v[110:111]
	v_add_f64 v[74:75], v[125:126], v[74:75]
	;; [unrolled: 1-line block ×5, first 2 shown]
	v_fma_f64 v[98:99], v[90:91], s[26:27], v[143:144]
	v_fma_f64 v[123:124], v[100:101], s[26:27], v[137:138]
	v_fma_f64 v[125:126], v[90:91], s[26:27], -v[143:144]
	v_mul_f64 v[133:134], v[86:87], s[34:35]
	v_mul_f64 v[86:87], v[86:87], s[30:31]
	v_add_f64 v[92:93], v[135:136], v[92:93]
	v_mul_f64 v[135:136], v[84:85], s[34:35]
	v_mul_f64 v[84:85], v[84:85], s[30:31]
	v_add_f64 v[98:99], v[98:99], v[127:128]
	v_add_f64 v[56:57], v[123:124], v[56:57]
	;; [unrolled: 1-line block ×3, first 2 shown]
	v_fma_f64 v[123:124], v[100:101], s[14:15], -v[133:134]
	v_fma_f64 v[125:126], v[100:101], s[14:15], v[133:134]
	v_fma_f64 v[127:128], v[100:101], s[18:19], -v[86:87]
	v_fma_f64 v[86:87], v[100:101], s[18:19], v[86:87]
	v_mul_f64 v[100:101], v[82:83], s[16:17]
	v_fma_f64 v[133:134], v[90:91], s[14:15], v[135:136]
	v_fma_f64 v[135:136], v[90:91], s[14:15], -v[135:136]
	v_fma_f64 v[137:138], v[90:91], s[18:19], v[84:85]
	v_fma_f64 v[84:85], v[90:91], s[18:19], -v[84:85]
	v_mul_f64 v[90:91], v[80:81], s[16:17]
	v_add_f64 v[72:73], v[125:126], v[72:73]
	v_add_f64 v[58:59], v[123:124], v[58:59]
	v_fma_f64 v[125:126], v[68:69], s[14:15], -v[100:101]
	v_add_f64 v[123:124], v[133:134], v[129:130]
	v_add_f64 v[48:49], v[86:87], v[48:49]
	;; [unrolled: 1-line block ×4, first 2 shown]
	v_fma_f64 v[129:130], v[70:71], s[14:15], v[90:91]
	v_mul_f64 v[84:85], v[82:83], s[36:37]
	v_fma_f64 v[90:91], v[70:71], s[14:15], -v[90:91]
	v_add_f64 v[86:87], v[125:126], v[94:95]
	v_mul_f64 v[94:95], v[80:81], s[36:37]
	v_add_f64 v[127:128], v[137:138], v[131:132]
	v_fma_f64 v[100:101], v[68:69], s[14:15], v[100:101]
	v_mul_f64 v[125:126], v[82:83], s[12:13]
	v_add_f64 v[54:55], v[129:130], v[54:55]
	v_fma_f64 v[129:130], v[68:69], s[26:27], -v[84:85]
	v_mul_f64 v[131:132], v[80:81], s[12:13]
	v_add_f64 v[74:75], v[90:91], v[74:75]
	v_fma_f64 v[133:134], v[70:71], s[26:27], v[94:95]
	v_fma_f64 v[84:85], v[68:69], s[26:27], v[84:85]
	v_fma_f64 v[90:91], v[70:71], s[26:27], -v[94:95]
	v_add_f64 v[52:53], v[141:142], v[52:53]
	v_add_f64 v[100:101], v[100:101], v[108:109]
	v_fma_f64 v[94:95], v[68:69], s[6:7], -v[125:126]
	v_add_f64 v[108:109], v[129:130], v[110:111]
	v_fma_f64 v[110:111], v[70:71], s[6:7], v[131:132]
	v_add_f64 v[113:114], v[133:134], v[113:114]
	v_mul_f64 v[129:130], v[82:83], s[22:23]
	v_mul_f64 v[133:134], v[80:81], s[22:23]
	v_add_f64 v[84:85], v[84:85], v[88:89]
	v_add_f64 v[88:89], v[90:91], v[92:93]
	v_fma_f64 v[90:91], v[68:69], s[6:7], v[125:126]
	v_add_f64 v[96:97], v[135:136], v[96:97]
	v_add_f64 v[52:53], v[94:95], v[52:53]
	;; [unrolled: 1-line block ×3, first 2 shown]
	v_fma_f64 v[94:95], v[70:71], s[6:7], -v[131:132]
	v_fma_f64 v[98:99], v[68:69], s[18:19], -v[129:130]
	v_fma_f64 v[110:111], v[70:71], s[18:19], v[133:134]
	v_mul_f64 v[82:83], v[82:83], s[20:21]
	v_mul_f64 v[80:81], v[80:81], s[20:21]
	v_add_f64 v[56:57], v[90:91], v[56:57]
	v_fma_f64 v[90:91], v[70:71], s[18:19], -v[133:134]
	v_fma_f64 v[125:126], v[68:69], s[18:19], v[129:130]
	v_add_f64 v[94:95], v[94:95], v[106:107]
	v_add_f64 v[58:59], v[98:99], v[58:59]
	;; [unrolled: 1-line block ×3, first 2 shown]
	v_fma_f64 v[106:107], v[68:69], s[24:25], -v[82:83]
	v_fma_f64 v[110:111], v[70:71], s[24:25], v[80:81]
	v_mul_f64 v[123:124], v[66:67], s[20:21]
	v_add_f64 v[90:91], v[90:91], v[96:97]
	v_mul_f64 v[96:97], v[64:65], s[20:21]
	v_add_f64 v[72:73], v[125:126], v[72:73]
	v_fma_f64 v[68:69], v[68:69], s[24:25], v[82:83]
	v_fma_f64 v[70:71], v[70:71], s[24:25], -v[80:81]
	v_add_f64 v[80:81], v[106:107], v[104:105]
	v_add_f64 v[82:83], v[110:111], v[127:128]
	v_mul_f64 v[104:105], v[66:67], s[34:35]
	v_fma_f64 v[106:107], v[60:61], s[24:25], -v[123:124]
	v_mul_f64 v[110:111], v[64:65], s[34:35]
	v_fma_f64 v[125:126], v[62:63], s[24:25], v[96:97]
	v_add_f64 v[48:49], v[68:69], v[48:49]
	v_add_f64 v[68:69], v[70:71], v[50:51]
	v_fma_f64 v[50:51], v[60:61], s[24:25], v[123:124]
	v_fma_f64 v[70:71], v[62:63], s[24:25], -v[96:97]
	v_fma_f64 v[96:97], v[60:61], s[14:15], -v[104:105]
	v_add_f64 v[86:87], v[106:107], v[86:87]
	v_fma_f64 v[106:107], v[62:63], s[14:15], v[110:111]
	v_add_f64 v[54:55], v[125:126], v[54:55]
	v_mul_f64 v[123:124], v[66:67], s[22:23]
	v_mul_f64 v[125:126], v[64:65], s[22:23]
	v_add_f64 v[100:101], v[50:51], v[100:101]
	v_add_f64 v[70:71], v[70:71], v[74:75]
	v_add_f64 v[96:97], v[96:97], v[108:109]
	v_fma_f64 v[50:51], v[60:61], s[14:15], v[104:105]
	v_add_f64 v[104:105], v[106:107], v[113:114]
	v_fma_f64 v[74:75], v[62:63], s[14:15], -v[110:111]
	v_fma_f64 v[106:107], v[60:61], s[18:19], -v[123:124]
	v_fma_f64 v[108:109], v[62:63], s[18:19], v[125:126]
	v_mul_f64 v[110:111], v[66:67], s[28:29]
	v_mul_f64 v[113:114], v[64:65], s[28:29]
	v_fma_f64 v[123:124], v[60:61], s[18:19], v[123:124]
	v_add_f64 v[84:85], v[50:51], v[84:85]
	v_fma_f64 v[50:51], v[62:63], s[18:19], -v[125:126]
	v_add_f64 v[88:89], v[74:75], v[88:89]
	v_add_f64 v[106:107], v[106:107], v[52:53]
	v_add_f64 v[92:93], v[108:109], v[92:93]
	v_fma_f64 v[52:53], v[60:61], s[26:27], -v[110:111]
	v_fma_f64 v[74:75], v[62:63], s[26:27], v[113:114]
	v_add_f64 v[108:109], v[123:124], v[56:57]
	v_mul_f64 v[56:57], v[66:67], s[12:13]
	v_add_f64 v[66:67], v[50:51], v[94:95]
	v_mul_f64 v[50:51], v[64:65], s[12:13]
	v_fma_f64 v[64:65], v[60:61], s[26:27], v[110:111]
	v_fma_f64 v[94:95], v[62:63], s[26:27], -v[113:114]
	v_add_f64 v[110:111], v[52:53], v[58:59]
	v_add_f64 v[98:99], v[74:75], v[98:99]
	v_mul_f64 v[52:53], v[76:77], s[28:29]
	v_fma_f64 v[58:59], v[60:61], s[6:7], -v[56:57]
	v_mul_f64 v[74:75], v[78:79], s[28:29]
	v_fma_f64 v[113:114], v[62:63], s[6:7], v[50:51]
	v_add_f64 v[123:124], v[64:65], v[72:73]
	v_fma_f64 v[56:57], v[60:61], s[6:7], v[56:57]
	v_fma_f64 v[60:61], v[62:63], s[6:7], -v[50:51]
	v_mul_f64 v[62:63], v[76:77], s[30:31]
	v_fma_f64 v[50:51], v[102:103], s[26:27], -v[52:53]
	v_add_f64 v[80:81], v[58:59], v[80:81]
	v_fma_f64 v[58:59], v[117:118], s[26:27], v[74:75]
	v_mul_f64 v[64:65], v[78:79], s[30:31]
	v_fma_f64 v[74:75], v[117:118], s[26:27], -v[74:75]
	v_add_f64 v[90:91], v[94:95], v[90:91]
	v_fma_f64 v[52:53], v[102:103], s[26:27], v[52:53]
	v_add_f64 v[94:95], v[56:57], v[48:49]
	v_add_f64 v[48:49], v[50:51], v[86:87]
	v_mul_f64 v[86:87], v[78:79], s[20:21]
	v_add_f64 v[50:51], v[58:59], v[54:55]
	v_fma_f64 v[54:55], v[102:103], s[18:19], -v[62:63]
	v_fma_f64 v[56:57], v[117:118], s[18:19], v[64:65]
	v_add_f64 v[74:75], v[74:75], v[70:71]
	v_mul_f64 v[70:71], v[76:77], s[20:21]
	v_fma_f64 v[58:59], v[102:103], s[18:19], v[62:63]
	v_add_f64 v[72:73], v[52:53], v[100:101]
	v_fma_f64 v[62:63], v[117:118], s[18:19], -v[64:65]
	v_add_f64 v[100:101], v[60:61], v[68:69]
	v_add_f64 v[52:53], v[54:55], v[96:97]
	;; [unrolled: 1-line block ×3, first 2 shown]
	v_fma_f64 v[64:65], v[117:118], s[24:25], v[86:87]
	v_fma_f64 v[60:61], v[102:103], s[24:25], -v[70:71]
	v_add_f64 v[56:57], v[58:59], v[84:85]
	v_fma_f64 v[68:69], v[102:103], s[24:25], v[70:71]
	v_fma_f64 v[70:71], v[117:118], s[24:25], -v[86:87]
	v_mul_f64 v[84:85], v[76:77], s[12:13]
	v_mul_f64 v[86:87], v[78:79], s[12:13]
	;; [unrolled: 1-line block ×4, first 2 shown]
	v_add_f64 v[58:59], v[62:63], v[88:89]
	v_add_f64 v[62:63], v[64:65], v[92:93]
	;; [unrolled: 1-line block ×4, first 2 shown]
	v_fma_f64 v[68:69], v[102:103], s[6:7], -v[84:85]
	v_fma_f64 v[70:71], v[117:118], s[6:7], v[86:87]
	v_add_f64 v[82:83], v[113:114], v[82:83]
	v_fma_f64 v[88:89], v[102:103], s[14:15], -v[76:77]
	v_fma_f64 v[92:93], v[117:118], s[14:15], v[78:79]
	v_fma_f64 v[84:85], v[102:103], s[6:7], v[84:85]
	v_fma_f64 v[86:87], v[117:118], s[6:7], -v[86:87]
	v_fma_f64 v[96:97], v[102:103], s[14:15], v[76:77]
	v_fma_f64 v[102:103], v[117:118], s[14:15], -v[78:79]
	v_add_f64 v[60:61], v[60:61], v[106:107]
	v_add_f64 v[68:69], v[68:69], v[110:111]
	;; [unrolled: 1-line block ×9, first 2 shown]
	v_mul_u32_u24_e32 v88, 11, v119
	v_add_lshl_u32 v124, v112, v88, 4
	ds_write_b128 v124, v[44:47]
	ds_write_b128 v124, v[48:51] offset:16
	ds_write_b128 v124, v[52:55] offset:32
	ds_write_b128 v124, v[60:63] offset:48
	ds_write_b128 v124, v[68:71] offset:64
	ds_write_b128 v124, v[80:83] offset:80
	ds_write_b128 v124, v[84:87] offset:96
	ds_write_b128 v124, v[76:79] offset:112
	ds_write_b128 v124, v[64:67] offset:128
	ds_write_b128 v124, v[56:59] offset:144
	ds_write_b128 v124, v[72:75] offset:160
	s_waitcnt lgkmcnt(0)
	; wave barrier
	s_waitcnt lgkmcnt(0)
	ds_read_b128 v[76:79], v121
	ds_read_b128 v[80:83], v120 offset:32
	ds_read_b128 v[96:99], v120 offset:208
	;; [unrolled: 1-line block ×9, first 2 shown]
	v_mov_b32_e32 v113, s9
	v_add_co_u32_e32 v117, vcc, s8, v122
	v_addc_co_u32_e32 v118, vcc, 0, v113, vcc
	v_cmp_eq_u32_e32 vcc, 0, v119
	v_mov_b32_e32 v44, 0
	v_lshlrev_b32_e32 v123, 4, v112
	v_mov_b32_e32 v45, 0
                                        ; implicit-def: $vgpr112_vgpr113
	s_and_saveexec_b64 s[6:7], vcc
	s_cbranch_execz .LBB0_3
; %bb.2:
	ds_read_b128 v[72:75], v123 offset:160
	ds_read_b128 v[112:115], v123 offset:336
	v_mov_b32_e32 v44, 10
	v_mov_b32_e32 v45, 0
.LBB0_3:
	s_or_b64 exec, exec, s[6:7]
	global_load_dwordx4 v[48:51], v122, s[10:11]
	global_load_dwordx4 v[52:55], v122, s[10:11] offset:32
	global_load_dwordx4 v[56:59], v122, s[10:11] offset:64
	;; [unrolled: 1-line block ×4, first 2 shown]
	v_lshlrev_b32_e32 v44, 4, v44
	global_load_dwordx4 v[44:47], v44, s[10:11]
	s_waitcnt vmcnt(5) lgkmcnt(3)
	v_mul_f64 v[125:126], v[110:111], v[50:51]
	v_mul_f64 v[127:128], v[108:109], v[50:51]
	s_waitcnt vmcnt(4)
	v_mul_f64 v[129:130], v[98:99], v[54:55]
	v_mul_f64 v[131:132], v[96:97], v[54:55]
	s_waitcnt vmcnt(3)
	v_mul_f64 v[133:134], v[66:67], v[58:59]
	v_mul_f64 v[135:136], v[64:65], v[58:59]
	s_waitcnt vmcnt(2) lgkmcnt(1)
	v_mul_f64 v[137:138], v[106:107], v[62:63]
	v_mul_f64 v[139:140], v[104:105], v[62:63]
	s_waitcnt vmcnt(1) lgkmcnt(0)
	v_mul_f64 v[141:142], v[102:103], v[70:71]
	v_mul_f64 v[143:144], v[100:101], v[70:71]
	s_waitcnt vmcnt(0)
	v_mul_f64 v[145:146], v[114:115], v[46:47]
	v_mul_f64 v[147:148], v[112:113], v[46:47]
	v_fma_f64 v[108:109], v[108:109], v[48:49], -v[125:126]
	v_fma_f64 v[110:111], v[110:111], v[48:49], v[127:128]
	v_fma_f64 v[125:126], v[96:97], v[52:53], -v[129:130]
	v_fma_f64 v[127:128], v[98:99], v[52:53], v[131:132]
	;; [unrolled: 2-line block ×6, first 2 shown]
	v_add_f64 v[96:97], v[76:77], -v[108:109]
	v_add_f64 v[98:99], v[78:79], -v[110:111]
	;; [unrolled: 1-line block ×12, first 2 shown]
	v_fma_f64 v[76:77], v[76:77], 2.0, -v[96:97]
	v_fma_f64 v[78:79], v[78:79], 2.0, -v[98:99]
	;; [unrolled: 1-line block ×10, first 2 shown]
	ds_write_b128 v121, v[76:79]
	ds_write_b128 v120, v[96:99] offset:176
	ds_write_b128 v120, v[80:83] offset:32
	;; [unrolled: 1-line block ×9, first 2 shown]
	s_and_saveexec_b64 s[6:7], vcc
	s_cbranch_execz .LBB0_5
; %bb.4:
	v_fma_f64 v[74:75], v[74:75], 2.0, -v[66:67]
	v_fma_f64 v[72:73], v[72:73], 2.0, -v[64:65]
	ds_write_b128 v123, v[72:75] offset:160
	ds_write_b128 v123, v[64:67] offset:336
.LBB0_5:
	s_or_b64 exec, exec, s[6:7]
	s_waitcnt lgkmcnt(0)
	; wave barrier
	s_waitcnt lgkmcnt(0)
	global_load_dwordx4 v[76:79], v[117:118], off offset:352
	s_add_u32 s6, s8, 0x160
	s_addc_u32 s7, s9, 0
	global_load_dwordx4 v[72:75], v122, s[6:7] offset:32
	global_load_dwordx4 v[80:83], v122, s[6:7] offset:64
	;; [unrolled: 1-line block ×10, first 2 shown]
	ds_read_b128 v[125:128], v121
	v_add_u32_e32 v117, v123, v122
	s_mov_b32 s16, 0x8764f0ba
	s_mov_b32 s8, 0xd9c712b6
	;; [unrolled: 1-line block ×24, first 2 shown]
	s_waitcnt vmcnt(10) lgkmcnt(0)
	v_mul_f64 v[129:130], v[127:128], v[78:79]
	v_mul_f64 v[78:79], v[125:126], v[78:79]
	v_fma_f64 v[125:126], v[125:126], v[76:77], -v[129:130]
	v_fma_f64 v[127:128], v[127:128], v[76:77], v[78:79]
	ds_write_b128 v121, v[125:128]
	ds_read_b128 v[76:79], v120 offset:32
	ds_read_b128 v[125:128], v120 offset:64
	;; [unrolled: 1-line block ×10, first 2 shown]
	s_waitcnt vmcnt(9) lgkmcnt(9)
	v_mul_f64 v[161:162], v[78:79], v[74:75]
	v_mul_f64 v[163:164], v[76:77], v[74:75]
	s_waitcnt vmcnt(8) lgkmcnt(8)
	v_mul_f64 v[165:166], v[127:128], v[82:83]
	v_mul_f64 v[82:83], v[125:126], v[82:83]
	;; [unrolled: 3-line block ×5, first 2 shown]
	s_waitcnt vmcnt(4)
	v_mul_f64 v[173:174], v[139:140], v[98:99]
	v_mul_f64 v[98:99], v[137:138], v[98:99]
	s_waitcnt vmcnt(3)
	v_mul_f64 v[175:176], v[143:144], v[102:103]
	v_mul_f64 v[102:103], v[141:142], v[102:103]
	;; [unrolled: 3-line block ×4, first 2 shown]
	s_waitcnt vmcnt(0) lgkmcnt(0)
	v_mul_f64 v[181:182], v[159:160], v[114:115]
	v_mul_f64 v[114:115], v[157:158], v[114:115]
	v_fma_f64 v[74:75], v[76:77], v[72:73], -v[161:162]
	v_fma_f64 v[76:77], v[78:79], v[72:73], v[163:164]
	v_fma_f64 v[78:79], v[125:126], v[80:81], -v[165:166]
	v_fma_f64 v[80:81], v[127:128], v[80:81], v[82:83]
	;; [unrolled: 2-line block ×10, first 2 shown]
	ds_write_b128 v120, v[74:77] offset:32
	ds_write_b128 v120, v[78:81] offset:64
	;; [unrolled: 1-line block ×10, first 2 shown]
	s_waitcnt lgkmcnt(0)
	; wave barrier
	s_waitcnt lgkmcnt(0)
	ds_read_b128 v[72:75], v121
	ds_read_b128 v[76:79], v120 offset:32
	ds_read_b128 v[80:83], v120 offset:64
	;; [unrolled: 1-line block ×6, first 2 shown]
	s_waitcnt lgkmcnt(5)
	v_add_f64 v[125:126], v[72:73], v[76:77]
	v_add_f64 v[127:128], v[74:75], v[78:79]
	ds_read_b128 v[100:103], v120 offset:128
	ds_read_b128 v[104:107], v120 offset:192
	;; [unrolled: 1-line block ×4, first 2 shown]
	s_waitcnt lgkmcnt(5)
	v_add_f64 v[137:138], v[82:83], v[94:95]
	s_waitcnt lgkmcnt(4)
	v_add_f64 v[131:132], v[78:79], -v[98:99]
	v_add_f64 v[129:130], v[76:77], v[96:97]
	v_add_f64 v[78:79], v[78:79], v[98:99]
	v_add_f64 v[133:134], v[76:77], -v[96:97]
	v_add_f64 v[125:126], v[125:126], v[80:81]
	v_add_f64 v[127:128], v[127:128], v[82:83]
	v_add_f64 v[82:83], v[82:83], -v[94:95]
	v_add_f64 v[135:136], v[80:81], v[92:93]
	v_mul_f64 v[76:77], v[131:132], s[22:23]
	v_mul_f64 v[141:142], v[131:132], s[6:7]
	;; [unrolled: 1-line block ×4, first 2 shown]
	v_add_f64 v[125:126], v[125:126], v[84:85]
	v_add_f64 v[127:128], v[127:128], v[86:87]
	v_mul_f64 v[147:148], v[78:79], s[14:15]
	v_mul_f64 v[151:152], v[78:79], s[26:27]
	;; [unrolled: 1-line block ×3, first 2 shown]
	v_fma_f64 v[78:79], v[129:130], s[16:17], v[76:77]
	v_fma_f64 v[76:77], v[129:130], s[16:17], -v[76:77]
	v_mul_f64 v[145:146], v[131:132], s[10:11]
	s_waitcnt lgkmcnt(3)
	v_add_f64 v[125:126], v[125:126], v[100:101]
	v_add_f64 v[127:128], v[127:128], v[102:103]
	v_mul_f64 v[149:150], v[131:132], s[24:25]
	v_mul_f64 v[131:132], v[131:132], s[30:31]
	v_fma_f64 v[159:160], v[133:134], s[12:13], v[143:144]
	v_add_f64 v[173:174], v[72:73], v[78:79]
	v_add_f64 v[175:176], v[72:73], v[76:77]
	v_fma_f64 v[163:164], v[133:134], s[18:19], v[147:148]
	v_add_f64 v[125:126], v[125:126], v[88:89]
	v_add_f64 v[127:128], v[127:128], v[90:91]
	v_fma_f64 v[155:156], v[133:134], s[20:21], v[139:140]
	v_fma_f64 v[139:140], v[133:134], s[22:23], v[139:140]
	;; [unrolled: 1-line block ×3, first 2 shown]
	v_fma_f64 v[141:142], v[129:130], s[8:9], -v[141:142]
	v_fma_f64 v[143:144], v[133:134], s[6:7], v[143:144]
	v_fma_f64 v[161:162], v[129:130], s[14:15], v[145:146]
	s_waitcnt lgkmcnt(2)
	v_add_f64 v[125:126], v[125:126], v[104:105]
	v_add_f64 v[127:128], v[127:128], v[106:107]
	v_fma_f64 v[145:146], v[129:130], s[14:15], -v[145:146]
	v_fma_f64 v[147:148], v[133:134], s[10:11], v[147:148]
	v_fma_f64 v[165:166], v[129:130], s[26:27], v[149:150]
	;; [unrolled: 1-line block ×3, first 2 shown]
	v_fma_f64 v[149:150], v[129:130], s[26:27], -v[149:150]
	v_fma_f64 v[151:152], v[133:134], s[24:25], v[151:152]
	s_waitcnt lgkmcnt(1)
	v_add_f64 v[125:126], v[125:126], v[108:109]
	v_add_f64 v[127:128], v[127:128], v[110:111]
	v_fma_f64 v[169:170], v[129:130], s[34:35], v[131:132]
	v_fma_f64 v[171:172], v[133:134], s[36:37], v[153:154]
	v_add_f64 v[80:81], v[80:81], -v[92:93]
	v_add_f64 v[155:156], v[74:75], v[155:156]
	v_add_f64 v[139:140], v[74:75], v[139:140]
	v_add_f64 v[141:142], v[72:73], v[141:142]
	s_waitcnt lgkmcnt(0)
	v_add_f64 v[76:77], v[125:126], v[112:113]
	v_add_f64 v[78:79], v[127:128], v[114:115]
	;; [unrolled: 1-line block ×4, first 2 shown]
	v_mul_f64 v[163:164], v[137:138], s[26:27]
	v_add_f64 v[125:126], v[72:73], v[157:158]
	v_add_f64 v[143:144], v[74:75], v[143:144]
	;; [unrolled: 1-line block ×13, first 2 shown]
	v_mul_f64 v[96:97], v[137:138], s[8:9]
	v_fma_f64 v[98:99], v[129:130], s[34:35], -v[131:132]
	v_fma_f64 v[129:130], v[133:134], s[30:31], v[153:154]
	v_mul_f64 v[153:154], v[82:83], s[24:25]
	v_add_f64 v[131:132], v[72:73], v[169:170]
	v_add_f64 v[133:134], v[74:75], v[171:172]
	v_mul_f64 v[169:170], v[137:138], s[34:35]
	v_mul_f64 v[171:172], v[137:138], s[14:15]
	v_fma_f64 v[167:168], v[80:81], s[12:13], v[96:97]
	v_add_f64 v[72:73], v[72:73], v[98:99]
	v_add_f64 v[74:75], v[74:75], v[129:130]
	v_fma_f64 v[98:99], v[135:136], s[26:27], v[153:154]
	v_fma_f64 v[129:130], v[80:81], s[28:29], v[163:164]
	;; [unrolled: 1-line block ×3, first 2 shown]
	v_mul_f64 v[92:93], v[82:83], s[6:7]
	v_mul_f64 v[137:138], v[137:138], s[16:17]
	v_add_f64 v[155:156], v[167:168], v[155:156]
	v_mul_f64 v[167:168], v[82:83], s[36:37]
	v_add_f64 v[98:99], v[98:99], v[125:126]
	v_add_f64 v[125:126], v[129:130], v[127:128]
	v_fma_f64 v[127:128], v[135:136], s[26:27], -v[153:154]
	v_fma_f64 v[129:130], v[80:81], s[24:25], v[163:164]
	v_fma_f64 v[153:154], v[80:81], s[30:31], v[169:170]
	v_mul_f64 v[163:164], v[82:83], s[18:19]
	v_add_f64 v[96:97], v[96:97], v[139:140]
	v_fma_f64 v[139:140], v[135:136], s[34:35], v[167:168]
	v_mul_f64 v[82:83], v[82:83], s[20:21]
	v_fma_f64 v[165:166], v[135:136], s[8:9], v[92:93]
	v_add_f64 v[127:128], v[127:128], v[141:142]
	v_add_f64 v[129:130], v[129:130], v[143:144]
	;; [unrolled: 1-line block ×3, first 2 shown]
	v_fma_f64 v[143:144], v[135:136], s[14:15], v[163:164]
	v_fma_f64 v[153:154], v[80:81], s[10:11], v[171:172]
	v_add_f64 v[139:140], v[139:140], v[157:158]
	v_fma_f64 v[157:158], v[135:136], s[14:15], -v[163:164]
	v_fma_f64 v[159:160], v[80:81], s[18:19], v[171:172]
	v_fma_f64 v[92:93], v[135:136], s[8:9], -v[92:93]
	v_fma_f64 v[167:168], v[135:136], s[34:35], -v[167:168]
	v_fma_f64 v[169:170], v[80:81], s[36:37], v[169:170]
	v_add_f64 v[143:144], v[143:144], v[147:148]
	v_add_f64 v[147:148], v[153:154], v[161:162]
	v_add_f64 v[153:154], v[86:87], -v[114:115]
	v_add_f64 v[86:87], v[86:87], v[114:115]
	v_add_f64 v[114:115], v[157:158], v[149:150]
	;; [unrolled: 1-line block ×3, first 2 shown]
	v_fma_f64 v[151:152], v[135:136], s[16:17], v[82:83]
	v_fma_f64 v[157:158], v[80:81], s[22:23], v[137:138]
	v_add_f64 v[159:160], v[84:85], v[112:113]
	v_add_f64 v[84:85], v[84:85], -v[112:113]
	v_mul_f64 v[112:113], v[153:154], s[10:11]
	v_mul_f64 v[161:162], v[86:87], s[14:15]
	v_fma_f64 v[82:83], v[135:136], s[16:17], -v[82:83]
	v_fma_f64 v[80:81], v[80:81], s[20:21], v[137:138]
	v_mul_f64 v[135:136], v[153:154], s[36:37]
	v_add_f64 v[92:93], v[92:93], v[175:176]
	v_add_f64 v[131:132], v[151:152], v[131:132]
	;; [unrolled: 1-line block ×3, first 2 shown]
	v_mul_f64 v[137:138], v[86:87], s[34:35]
	v_fma_f64 v[151:152], v[159:160], s[14:15], v[112:113]
	v_fma_f64 v[157:158], v[84:85], s[18:19], v[161:162]
	v_add_f64 v[74:75], v[80:81], v[74:75]
	v_fma_f64 v[80:81], v[159:160], s[14:15], -v[112:113]
	v_fma_f64 v[112:113], v[159:160], s[34:35], v[135:136]
	v_add_f64 v[72:73], v[82:83], v[72:73]
	v_fma_f64 v[82:83], v[84:85], s[10:11], v[161:162]
	v_fma_f64 v[161:162], v[84:85], s[30:31], v[137:138]
	v_mul_f64 v[163:164], v[86:87], s[8:9]
	v_add_f64 v[155:156], v[157:158], v[155:156]
	v_mul_f64 v[157:158], v[153:154], s[12:13]
	v_add_f64 v[80:81], v[80:81], v[92:93]
	v_add_f64 v[92:93], v[112:113], v[98:99]
	v_fma_f64 v[112:113], v[84:85], s[36:37], v[137:138]
	v_mul_f64 v[137:138], v[153:154], s[22:23]
	v_add_f64 v[145:146], v[169:170], v[145:146]
	v_add_f64 v[82:83], v[82:83], v[96:97]
	;; [unrolled: 1-line block ×3, first 2 shown]
	v_fma_f64 v[98:99], v[159:160], s[34:35], -v[135:136]
	v_fma_f64 v[125:126], v[159:160], s[8:9], v[157:158]
	v_fma_f64 v[135:136], v[84:85], s[6:7], v[163:164]
	v_mul_f64 v[161:162], v[86:87], s[16:17]
	v_fma_f64 v[163:164], v[84:85], s[12:13], v[163:164]
	v_add_f64 v[112:113], v[112:113], v[129:130]
	v_fma_f64 v[129:130], v[159:160], s[16:17], v[137:138]
	v_mul_f64 v[86:87], v[86:87], s[26:27]
	v_add_f64 v[98:99], v[98:99], v[127:128]
	v_add_f64 v[125:126], v[125:126], v[139:140]
	;; [unrolled: 1-line block ×3, first 2 shown]
	v_fma_f64 v[135:136], v[84:85], s[20:21], v[161:162]
	v_add_f64 v[139:140], v[163:164], v[145:146]
	v_mul_f64 v[141:142], v[153:154], s[24:25]
	v_fma_f64 v[137:138], v[159:160], s[16:17], -v[137:138]
	v_fma_f64 v[145:146], v[84:85], s[22:23], v[161:162]
	v_add_f64 v[129:130], v[129:130], v[143:144]
	v_add_f64 v[143:144], v[102:103], -v[110:111]
	v_add_f64 v[102:103], v[102:103], v[110:111]
	v_add_f64 v[135:136], v[135:136], v[147:148]
	v_fma_f64 v[147:148], v[84:85], s[28:29], v[86:87]
	v_fma_f64 v[110:111], v[159:160], s[26:27], v[141:142]
	v_add_f64 v[114:115], v[137:138], v[114:115]
	v_add_f64 v[137:138], v[145:146], v[149:150]
	;; [unrolled: 1-line block ×3, first 2 shown]
	v_add_f64 v[100:101], v[100:101], -v[108:109]
	v_mul_f64 v[108:109], v[143:144], s[24:25]
	v_add_f64 v[165:166], v[165:166], v[173:174]
	v_mul_f64 v[149:150], v[102:103], s[26:27]
	v_add_f64 v[110:111], v[110:111], v[131:132]
	v_add_f64 v[131:132], v[147:148], v[133:134]
	;; [unrolled: 1-line block ×3, first 2 shown]
	v_fma_f64 v[157:158], v[159:160], s[8:9], -v[157:158]
	v_fma_f64 v[133:134], v[159:160], s[26:27], -v[141:142]
	v_fma_f64 v[147:148], v[145:146], s[26:27], v[108:109]
	v_fma_f64 v[108:109], v[145:146], s[26:27], -v[108:109]
	v_add_f64 v[151:152], v[151:152], v[165:166]
	v_fma_f64 v[84:85], v[84:85], s[24:25], v[86:87]
	v_mul_f64 v[86:87], v[143:144], s[18:19]
	v_mul_f64 v[141:142], v[102:103], s[14:15]
	v_fma_f64 v[153:154], v[100:101], s[28:29], v[149:150]
	v_fma_f64 v[149:150], v[100:101], s[24:25], v[149:150]
	v_add_f64 v[94:95], v[157:158], v[94:95]
	v_add_f64 v[108:109], v[108:109], v[80:81]
	v_mul_f64 v[80:81], v[143:144], s[22:23]
	v_add_f64 v[72:73], v[133:134], v[72:73]
	v_add_f64 v[74:75], v[84:85], v[74:75]
	v_fma_f64 v[84:85], v[145:146], s[14:15], v[86:87]
	v_fma_f64 v[133:134], v[100:101], s[10:11], v[141:142]
	v_add_f64 v[147:148], v[147:148], v[151:152]
	v_add_f64 v[151:152], v[153:154], v[155:156]
	;; [unrolled: 1-line block ×3, first 2 shown]
	v_mul_f64 v[82:83], v[102:103], s[16:17]
	v_fma_f64 v[141:142], v[100:101], s[18:19], v[141:142]
	v_fma_f64 v[153:154], v[145:146], s[16:17], v[80:81]
	v_fma_f64 v[80:81], v[145:146], s[16:17], -v[80:81]
	v_add_f64 v[84:85], v[84:85], v[92:93]
	v_add_f64 v[92:93], v[133:134], v[96:97]
	v_mul_f64 v[96:97], v[143:144], s[30:31]
	v_mul_f64 v[133:134], v[102:103], s[34:35]
	v_fma_f64 v[86:87], v[145:146], s[14:15], -v[86:87]
	v_fma_f64 v[155:156], v[100:101], s[20:21], v[82:83]
	v_fma_f64 v[82:83], v[100:101], s[22:23], v[82:83]
	v_add_f64 v[112:113], v[141:142], v[112:113]
	v_add_f64 v[125:126], v[153:154], v[125:126]
	;; [unrolled: 1-line block ×3, first 2 shown]
	v_add_f64 v[153:154], v[90:91], -v[106:107]
	v_add_f64 v[106:107], v[90:91], v[106:107]
	v_mul_f64 v[80:81], v[143:144], s[12:13]
	v_fma_f64 v[157:158], v[145:146], s[34:35], v[96:97]
	v_add_f64 v[98:99], v[86:87], v[98:99]
	v_add_f64 v[139:140], v[82:83], v[139:140]
	v_mul_f64 v[82:83], v[102:103], s[8:9]
	v_fma_f64 v[86:87], v[145:146], s[34:35], -v[96:97]
	v_fma_f64 v[90:91], v[100:101], s[30:31], v[133:134]
	v_add_f64 v[102:103], v[88:89], v[104:105]
	v_add_f64 v[104:105], v[88:89], -v[104:105]
	v_mul_f64 v[88:89], v[153:154], s[30:31]
	v_mul_f64 v[94:95], v[106:107], s[34:35]
	v_fma_f64 v[96:97], v[145:146], s[8:9], v[80:81]
	v_fma_f64 v[159:160], v[100:101], s[36:37], v[133:134]
	;; [unrolled: 1-line block ×3, first 2 shown]
	v_add_f64 v[114:115], v[86:87], v[114:115]
	v_add_f64 v[137:138], v[90:91], v[137:138]
	v_fma_f64 v[80:81], v[145:146], s[8:9], -v[80:81]
	v_fma_f64 v[82:83], v[100:101], s[12:13], v[82:83]
	v_fma_f64 v[86:87], v[102:103], s[34:35], v[88:89]
	;; [unrolled: 1-line block ×3, first 2 shown]
	v_add_f64 v[110:111], v[96:97], v[110:111]
	v_mul_f64 v[96:97], v[153:154], s[20:21]
	v_mul_f64 v[100:101], v[106:107], s[16:17]
	;; [unrolled: 1-line block ×3, first 2 shown]
	v_add_f64 v[131:132], v[133:134], v[131:132]
	v_add_f64 v[133:134], v[80:81], v[72:73]
	;; [unrolled: 1-line block ×5, first 2 shown]
	v_fma_f64 v[72:73], v[102:103], s[34:35], -v[88:89]
	v_fma_f64 v[74:75], v[104:105], s[30:31], v[94:95]
	v_fma_f64 v[86:87], v[102:103], s[16:17], v[96:97]
	;; [unrolled: 1-line block ×3, first 2 shown]
	v_mul_f64 v[94:95], v[153:154], s[24:25]
	v_fma_f64 v[90:91], v[102:103], s[16:17], -v[96:97]
	v_fma_f64 v[96:97], v[104:105], s[20:21], v[100:101]
	v_add_f64 v[127:128], v[155:156], v[127:128]
	v_fma_f64 v[100:101], v[104:105], s[28:29], v[145:146]
	v_add_f64 v[72:73], v[72:73], v[108:109]
	v_add_f64 v[84:85], v[86:87], v[84:85]
	;; [unrolled: 1-line block ×3, first 2 shown]
	v_fma_f64 v[92:93], v[102:103], s[26:27], v[94:95]
	v_add_f64 v[88:89], v[90:91], v[98:99]
	v_add_f64 v[90:91], v[96:97], v[112:113]
	v_mul_f64 v[108:109], v[153:154], s[12:13]
	v_mul_f64 v[112:113], v[106:107], s[8:9]
	v_fma_f64 v[96:97], v[102:103], s[26:27], -v[94:95]
	v_fma_f64 v[98:99], v[104:105], s[24:25], v[145:146]
	v_add_f64 v[94:95], v[100:101], v[127:128]
	v_mul_f64 v[100:101], v[153:154], s[10:11]
	v_mul_f64 v[106:107], v[106:107], s[14:15]
	v_add_f64 v[129:130], v[157:158], v[129:130]
	v_add_f64 v[135:136], v[159:160], v[135:136]
	;; [unrolled: 1-line block ×3, first 2 shown]
	v_fma_f64 v[125:126], v[102:103], s[8:9], v[108:109]
	v_fma_f64 v[127:128], v[104:105], s[6:7], v[112:113]
	v_add_f64 v[96:97], v[96:97], v[141:142]
	v_add_f64 v[98:99], v[98:99], v[139:140]
	v_fma_f64 v[108:109], v[102:103], s[8:9], -v[108:109]
	v_fma_f64 v[139:140], v[102:103], s[14:15], v[100:101]
	v_fma_f64 v[141:142], v[104:105], s[18:19], v[106:107]
	;; [unrolled: 1-line block ×3, first 2 shown]
	v_fma_f64 v[145:146], v[102:103], s[14:15], -v[100:101]
	v_fma_f64 v[147:148], v[104:105], s[10:11], v[106:107]
	v_add_f64 v[100:101], v[125:126], v[129:130]
	v_add_f64 v[102:103], v[127:128], v[135:136]
	;; [unrolled: 1-line block ×9, first 2 shown]
	; wave barrier
	ds_write_b128 v124, v[76:79]
	ds_write_b128 v124, v[80:83] offset:16
	ds_write_b128 v124, v[84:87] offset:32
	;; [unrolled: 1-line block ×10, first 2 shown]
	s_waitcnt lgkmcnt(0)
	; wave barrier
	s_waitcnt lgkmcnt(0)
	ds_read_b128 v[92:95], v121
	ds_read_b128 v[80:83], v120 offset:32
	ds_read_b128 v[108:111], v120 offset:208
	;; [unrolled: 1-line block ×9, first 2 shown]
	s_and_saveexec_b64 s[6:7], vcc
	s_cbranch_execz .LBB0_7
; %bb.6:
	ds_read_b128 v[72:75], v117 offset:160
	ds_read_b128 v[64:67], v123 offset:336
.LBB0_7:
	s_or_b64 exec, exec, s[6:7]
	s_waitcnt lgkmcnt(3)
	v_mul_f64 v[124:125], v[50:51], v[114:115]
	v_mul_f64 v[50:51], v[50:51], v[112:113]
	;; [unrolled: 1-line block ×6, first 2 shown]
	s_waitcnt lgkmcnt(1)
	v_mul_f64 v[130:131], v[62:63], v[106:107]
	v_mul_f64 v[62:63], v[62:63], v[104:105]
	v_fma_f64 v[112:113], v[48:49], v[112:113], v[124:125]
	v_fma_f64 v[50:51], v[48:49], v[114:115], -v[50:51]
	s_waitcnt lgkmcnt(0)
	v_mul_f64 v[114:115], v[70:71], v[102:103]
	v_mul_f64 v[70:71], v[70:71], v[100:101]
	v_fma_f64 v[108:109], v[52:53], v[108:109], v[126:127]
	v_fma_f64 v[54:55], v[52:53], v[110:111], -v[54:55]
	v_fma_f64 v[96:97], v[56:57], v[96:97], v[128:129]
	v_fma_f64 v[98:99], v[56:57], v[98:99], -v[58:59]
	;; [unrolled: 2-line block ×3, first 2 shown]
	v_add_f64 v[48:49], v[92:93], -v[112:113]
	v_add_f64 v[50:51], v[94:95], -v[50:51]
	v_fma_f64 v[100:101], v[68:69], v[100:101], v[114:115]
	v_fma_f64 v[102:103], v[68:69], v[102:103], -v[70:71]
	v_add_f64 v[52:53], v[80:81], -v[108:109]
	v_add_f64 v[54:55], v[82:83], -v[54:55]
	;; [unrolled: 1-line block ×6, first 2 shown]
	v_fma_f64 v[56:57], v[92:93], 2.0, -v[48:49]
	v_fma_f64 v[58:59], v[94:95], 2.0, -v[50:51]
	v_add_f64 v[92:93], v[76:77], -v[100:101]
	v_add_f64 v[94:95], v[78:79], -v[102:103]
	v_fma_f64 v[80:81], v[80:81], 2.0, -v[52:53]
	v_fma_f64 v[82:83], v[82:83], 2.0, -v[54:55]
	;; [unrolled: 1-line block ×8, first 2 shown]
	ds_write_b128 v121, v[56:59]
	ds_write_b128 v120, v[48:51] offset:176
	ds_write_b128 v120, v[80:83] offset:32
	;; [unrolled: 1-line block ×9, first 2 shown]
	s_and_saveexec_b64 s[6:7], vcc
	s_cbranch_execz .LBB0_9
; %bb.8:
	v_mul_f64 v[48:49], v[46:47], v[64:65]
	v_mul_f64 v[46:47], v[46:47], v[66:67]
	v_fma_f64 v[48:49], v[44:45], v[66:67], -v[48:49]
	v_fma_f64 v[44:45], v[44:45], v[64:65], v[46:47]
	v_add_f64 v[46:47], v[74:75], -v[48:49]
	v_add_f64 v[44:45], v[72:73], -v[44:45]
	v_fma_f64 v[50:51], v[74:75], 2.0, -v[46:47]
	v_fma_f64 v[48:49], v[72:73], 2.0, -v[44:45]
	ds_write_b128 v117, v[48:51] offset:160
	ds_write_b128 v123, v[44:47] offset:336
.LBB0_9:
	s_or_b64 exec, exec, s[6:7]
	s_waitcnt lgkmcnt(0)
	; wave barrier
	s_waitcnt lgkmcnt(0)
	ds_read_b128 v[44:47], v121
	ds_read_b128 v[48:51], v120 offset:32
	v_mad_u64_u32 v[54:55], s[6:7], s2, v116, 0
	s_mov_b32 s6, 0x745d1746
	s_waitcnt lgkmcnt(1)
	v_mul_f64 v[52:53], v[42:43], v[46:47]
	v_mul_f64 v[42:43], v[42:43], v[44:45]
	s_mov_b32 s7, 0x3fa745d1
	v_fma_f64 v[44:45], v[40:41], v[44:45], v[52:53]
	v_fma_f64 v[42:43], v[40:41], v[46:47], -v[42:43]
	v_mad_u64_u32 v[40:41], s[2:3], s3, v116, v[55:56]
	v_mov_b32_e32 v56, s5
	v_mul_lo_u32 v53, s1, v119
	v_mov_b32_e32 v55, v40
	v_lshlrev_b64 v[46:47], 4, v[54:55]
	s_waitcnt lgkmcnt(0)
	v_mul_f64 v[54:55], v[34:35], v[50:51]
	v_mul_f64 v[34:35], v[34:35], v[48:49]
	v_add_co_u32_e32 v58, vcc, s4, v46
	v_mul_f64 v[40:41], v[44:45], s[6:7]
	v_addc_co_u32_e32 v59, vcc, v56, v47, vcc
	ds_read_b128 v[44:47], v120 offset:64
	v_mul_lo_u32 v52, s0, v119
	v_mul_f64 v[42:43], v[42:43], s[6:7]
	v_fma_f64 v[48:49], v[32:33], v[48:49], v[54:55]
	v_fma_f64 v[50:51], v[32:33], v[50:51], -v[34:35]
	ds_read_b128 v[32:35], v120 offset:96
	s_waitcnt lgkmcnt(1)
	v_mul_f64 v[54:55], v[38:39], v[46:47]
	v_lshlrev_b64 v[52:53], 4, v[52:53]
	v_mul_f64 v[56:57], v[38:39], v[44:45]
	v_add_co_u32_e32 v52, vcc, v58, v52
	v_addc_co_u32_e32 v53, vcc, v59, v53, vcc
	global_store_dwordx4 v[52:53], v[40:43], off
	v_mul_f64 v[38:39], v[48:49], s[6:7]
	v_mul_f64 v[40:41], v[50:51], s[6:7]
	v_fma_f64 v[42:43], v[36:37], v[44:45], v[54:55]
	s_lshl_b64 s[0:1], s[0:1], 5
	v_fma_f64 v[44:45], v[36:37], v[46:47], -v[56:57]
	s_waitcnt lgkmcnt(0)
	v_mul_f64 v[46:47], v[26:27], v[34:35]
	v_mul_f64 v[26:27], v[26:27], v[32:33]
	v_mov_b32_e32 v58, s1
	v_add_co_u32_e32 v48, vcc, s0, v52
	v_addc_co_u32_e32 v49, vcc, v53, v58, vcc
	global_store_dwordx4 v[48:49], v[38:41], off
	v_mul_f64 v[36:37], v[42:43], s[6:7]
	ds_read_b128 v[40:43], v120 offset:128
	v_mul_f64 v[38:39], v[44:45], s[6:7]
	v_fma_f64 v[44:45], v[24:25], v[32:33], v[46:47]
	v_fma_f64 v[46:47], v[24:25], v[34:35], -v[26:27]
	ds_read_b128 v[24:27], v120 offset:192
	s_waitcnt lgkmcnt(1)
	v_mul_f64 v[50:51], v[30:31], v[42:43]
	v_mul_f64 v[52:53], v[30:31], v[40:41]
	ds_read_b128 v[30:33], v117 offset:160
	v_add_co_u32_e32 v48, vcc, s0, v48
	v_addc_co_u32_e32 v49, vcc, v49, v58, vcc
	global_store_dwordx4 v[48:49], v[36:39], off
	v_mul_f64 v[34:35], v[44:45], s[6:7]
	v_mul_f64 v[36:37], v[46:47], s[6:7]
	v_fma_f64 v[38:39], v[28:29], v[40:41], v[50:51]
	v_fma_f64 v[28:29], v[28:29], v[42:43], -v[52:53]
	s_waitcnt lgkmcnt(0)
	v_mul_f64 v[40:41], v[18:19], v[32:33]
	v_mul_f64 v[18:19], v[18:19], v[30:31]
	v_add_co_u32_e32 v42, vcc, s0, v48
	v_addc_co_u32_e32 v43, vcc, v49, v58, vcc
	global_store_dwordx4 v[42:43], v[34:37], off
	s_nop 0
	v_mul_f64 v[36:37], v[28:29], s[6:7]
	v_fma_f64 v[28:29], v[16:17], v[30:31], v[40:41]
	v_fma_f64 v[16:17], v[16:17], v[32:33], -v[18:19]
	v_mul_f64 v[18:19], v[14:15], v[26:27]
	v_mul_f64 v[32:33], v[14:15], v[24:25]
	;; [unrolled: 1-line block ×3, first 2 shown]
	v_add_co_u32_e32 v38, vcc, s0, v42
	v_addc_co_u32_e32 v39, vcc, v43, v58, vcc
	v_mul_f64 v[14:15], v[28:29], s[6:7]
	ds_read_b128 v[28:31], v120 offset:224
	v_mul_f64 v[16:17], v[16:17], s[6:7]
	v_fma_f64 v[18:19], v[12:13], v[24:25], v[18:19]
	v_fma_f64 v[32:33], v[12:13], v[26:27], -v[32:33]
	ds_read_b128 v[24:27], v120 offset:256
	global_store_dwordx4 v[38:39], v[34:37], off
	v_mul_f64 v[12:13], v[18:19], s[6:7]
	s_waitcnt lgkmcnt(1)
	v_mul_f64 v[34:35], v[6:7], v[30:31]
	v_mul_f64 v[6:7], v[6:7], v[28:29]
	v_add_co_u32_e32 v36, vcc, s0, v38
	v_addc_co_u32_e32 v37, vcc, v39, v58, vcc
	global_store_dwordx4 v[36:37], v[14:17], off
	s_waitcnt lgkmcnt(0)
	v_mul_f64 v[18:19], v[10:11], v[26:27]
	v_mul_f64 v[14:15], v[32:33], s[6:7]
	v_fma_f64 v[16:17], v[4:5], v[28:29], v[34:35]
	v_fma_f64 v[6:7], v[4:5], v[30:31], -v[6:7]
	v_mul_f64 v[28:29], v[10:11], v[24:25]
	v_add_co_u32_e32 v30, vcc, s0, v36
	v_addc_co_u32_e32 v31, vcc, v37, v58, vcc
	global_store_dwordx4 v[30:31], v[12:15], off
	ds_read_b128 v[10:13], v120 offset:288
	v_mul_f64 v[4:5], v[16:17], s[6:7]
	ds_read_b128 v[14:17], v120 offset:320
	v_mul_f64 v[6:7], v[6:7], s[6:7]
	v_fma_f64 v[18:19], v[8:9], v[24:25], v[18:19]
	v_fma_f64 v[8:9], v[8:9], v[26:27], -v[28:29]
	s_waitcnt lgkmcnt(1)
	v_mul_f64 v[24:25], v[2:3], v[12:13]
	v_mul_f64 v[26:27], v[2:3], v[10:11]
	s_waitcnt lgkmcnt(0)
	v_mul_f64 v[28:29], v[22:23], v[16:17]
	v_mul_f64 v[22:23], v[22:23], v[14:15]
	v_add_co_u32_e32 v30, vcc, s0, v30
	v_addc_co_u32_e32 v31, vcc, v31, v58, vcc
	global_store_dwordx4 v[30:31], v[4:7], off
	v_mul_f64 v[2:3], v[18:19], s[6:7]
	v_fma_f64 v[6:7], v[0:1], v[10:11], v[24:25]
	v_fma_f64 v[0:1], v[0:1], v[12:13], -v[26:27]
	v_mul_f64 v[4:5], v[8:9], s[6:7]
	v_fma_f64 v[10:11], v[20:21], v[14:15], v[28:29]
	v_fma_f64 v[12:13], v[20:21], v[16:17], -v[22:23]
	v_add_co_u32_e32 v14, vcc, s0, v30
	v_addc_co_u32_e32 v15, vcc, v31, v58, vcc
	v_mul_f64 v[6:7], v[6:7], s[6:7]
	v_mul_f64 v[8:9], v[0:1], s[6:7]
	global_store_dwordx4 v[14:15], v[2:5], off
	v_mul_f64 v[0:1], v[10:11], s[6:7]
	v_mul_f64 v[2:3], v[12:13], s[6:7]
	v_add_co_u32_e32 v4, vcc, s0, v14
	v_addc_co_u32_e32 v5, vcc, v15, v58, vcc
	global_store_dwordx4 v[4:5], v[6:9], off
	v_add_co_u32_e32 v4, vcc, s0, v4
	v_addc_co_u32_e32 v5, vcc, v5, v58, vcc
	global_store_dwordx4 v[4:5], v[0:3], off
.LBB0_10:
	s_endpgm
	.section	.rodata,"a",@progbits
	.p2align	6, 0x0
	.amdhsa_kernel bluestein_single_back_len22_dim1_dp_op_CI_CI
		.amdhsa_group_segment_fixed_size 11264
		.amdhsa_private_segment_fixed_size 0
		.amdhsa_kernarg_size 104
		.amdhsa_user_sgpr_count 6
		.amdhsa_user_sgpr_private_segment_buffer 1
		.amdhsa_user_sgpr_dispatch_ptr 0
		.amdhsa_user_sgpr_queue_ptr 0
		.amdhsa_user_sgpr_kernarg_segment_ptr 1
		.amdhsa_user_sgpr_dispatch_id 0
		.amdhsa_user_sgpr_flat_scratch_init 0
		.amdhsa_user_sgpr_private_segment_size 0
		.amdhsa_uses_dynamic_stack 0
		.amdhsa_system_sgpr_private_segment_wavefront_offset 0
		.amdhsa_system_sgpr_workgroup_id_x 1
		.amdhsa_system_sgpr_workgroup_id_y 0
		.amdhsa_system_sgpr_workgroup_id_z 0
		.amdhsa_system_sgpr_workgroup_info 0
		.amdhsa_system_vgpr_workitem_id 0
		.amdhsa_next_free_vgpr 183
		.amdhsa_next_free_sgpr 38
		.amdhsa_reserve_vcc 1
		.amdhsa_reserve_flat_scratch 0
		.amdhsa_float_round_mode_32 0
		.amdhsa_float_round_mode_16_64 0
		.amdhsa_float_denorm_mode_32 3
		.amdhsa_float_denorm_mode_16_64 3
		.amdhsa_dx10_clamp 1
		.amdhsa_ieee_mode 1
		.amdhsa_fp16_overflow 0
		.amdhsa_exception_fp_ieee_invalid_op 0
		.amdhsa_exception_fp_denorm_src 0
		.amdhsa_exception_fp_ieee_div_zero 0
		.amdhsa_exception_fp_ieee_overflow 0
		.amdhsa_exception_fp_ieee_underflow 0
		.amdhsa_exception_fp_ieee_inexact 0
		.amdhsa_exception_int_div_zero 0
	.end_amdhsa_kernel
	.text
.Lfunc_end0:
	.size	bluestein_single_back_len22_dim1_dp_op_CI_CI, .Lfunc_end0-bluestein_single_back_len22_dim1_dp_op_CI_CI
                                        ; -- End function
	.section	.AMDGPU.csdata,"",@progbits
; Kernel info:
; codeLenInByte = 9352
; NumSgprs: 42
; NumVgprs: 183
; ScratchSize: 0
; MemoryBound: 0
; FloatMode: 240
; IeeeMode: 1
; LDSByteSize: 11264 bytes/workgroup (compile time only)
; SGPRBlocks: 5
; VGPRBlocks: 45
; NumSGPRsForWavesPerEU: 42
; NumVGPRsForWavesPerEU: 183
; Occupancy: 1
; WaveLimiterHint : 1
; COMPUTE_PGM_RSRC2:SCRATCH_EN: 0
; COMPUTE_PGM_RSRC2:USER_SGPR: 6
; COMPUTE_PGM_RSRC2:TRAP_HANDLER: 0
; COMPUTE_PGM_RSRC2:TGID_X_EN: 1
; COMPUTE_PGM_RSRC2:TGID_Y_EN: 0
; COMPUTE_PGM_RSRC2:TGID_Z_EN: 0
; COMPUTE_PGM_RSRC2:TIDIG_COMP_CNT: 0
	.type	__hip_cuid_ea870c6126638ae8,@object ; @__hip_cuid_ea870c6126638ae8
	.section	.bss,"aw",@nobits
	.globl	__hip_cuid_ea870c6126638ae8
__hip_cuid_ea870c6126638ae8:
	.byte	0                               ; 0x0
	.size	__hip_cuid_ea870c6126638ae8, 1

	.ident	"AMD clang version 19.0.0git (https://github.com/RadeonOpenCompute/llvm-project roc-6.4.0 25133 c7fe45cf4b819c5991fe208aaa96edf142730f1d)"
	.section	".note.GNU-stack","",@progbits
	.addrsig
	.addrsig_sym __hip_cuid_ea870c6126638ae8
	.amdgpu_metadata
---
amdhsa.kernels:
  - .args:
      - .actual_access:  read_only
        .address_space:  global
        .offset:         0
        .size:           8
        .value_kind:     global_buffer
      - .actual_access:  read_only
        .address_space:  global
        .offset:         8
        .size:           8
        .value_kind:     global_buffer
      - .actual_access:  read_only
        .address_space:  global
        .offset:         16
        .size:           8
        .value_kind:     global_buffer
      - .actual_access:  read_only
        .address_space:  global
        .offset:         24
        .size:           8
        .value_kind:     global_buffer
      - .actual_access:  read_only
        .address_space:  global
        .offset:         32
        .size:           8
        .value_kind:     global_buffer
      - .offset:         40
        .size:           8
        .value_kind:     by_value
      - .address_space:  global
        .offset:         48
        .size:           8
        .value_kind:     global_buffer
      - .address_space:  global
        .offset:         56
        .size:           8
        .value_kind:     global_buffer
      - .address_space:  global
        .offset:         64
        .size:           8
        .value_kind:     global_buffer
      - .address_space:  global
        .offset:         72
        .size:           8
        .value_kind:     global_buffer
      - .offset:         80
        .size:           4
        .value_kind:     by_value
      - .address_space:  global
        .offset:         88
        .size:           8
        .value_kind:     global_buffer
      - .address_space:  global
        .offset:         96
        .size:           8
        .value_kind:     global_buffer
    .group_segment_fixed_size: 11264
    .kernarg_segment_align: 8
    .kernarg_segment_size: 104
    .language:       OpenCL C
    .language_version:
      - 2
      - 0
    .max_flat_workgroup_size: 64
    .name:           bluestein_single_back_len22_dim1_dp_op_CI_CI
    .private_segment_fixed_size: 0
    .sgpr_count:     42
    .sgpr_spill_count: 0
    .symbol:         bluestein_single_back_len22_dim1_dp_op_CI_CI.kd
    .uniform_work_group_size: 1
    .uses_dynamic_stack: false
    .vgpr_count:     183
    .vgpr_spill_count: 0
    .wavefront_size: 64
amdhsa.target:   amdgcn-amd-amdhsa--gfx906
amdhsa.version:
  - 1
  - 2
...

	.end_amdgpu_metadata
